;; amdgpu-corpus repo=ROCm/rocFFT kind=compiled arch=gfx906 opt=O3
	.text
	.amdgcn_target "amdgcn-amd-amdhsa--gfx906"
	.amdhsa_code_object_version 6
	.protected	fft_rtc_back_len1001_factors_13_7_11_wgs_182_tpt_91_halfLds_half_ip_CI_unitstride_sbrr_dirReg ; -- Begin function fft_rtc_back_len1001_factors_13_7_11_wgs_182_tpt_91_halfLds_half_ip_CI_unitstride_sbrr_dirReg
	.globl	fft_rtc_back_len1001_factors_13_7_11_wgs_182_tpt_91_halfLds_half_ip_CI_unitstride_sbrr_dirReg
	.p2align	8
	.type	fft_rtc_back_len1001_factors_13_7_11_wgs_182_tpt_91_halfLds_half_ip_CI_unitstride_sbrr_dirReg,@function
fft_rtc_back_len1001_factors_13_7_11_wgs_182_tpt_91_halfLds_half_ip_CI_unitstride_sbrr_dirReg: ; @fft_rtc_back_len1001_factors_13_7_11_wgs_182_tpt_91_halfLds_half_ip_CI_unitstride_sbrr_dirReg
; %bb.0:
	s_load_dwordx2 s[12:13], s[4:5], 0x50
	s_load_dwordx4 s[8:11], s[4:5], 0x0
	s_load_dwordx2 s[2:3], s[4:5], 0x18
	v_mul_u32_u24_e32 v1, 0x2d1, v0
	v_lshrrev_b32_e32 v9, 16, v1
	v_mov_b32_e32 v3, 0
	s_waitcnt lgkmcnt(0)
	v_cmp_lt_u64_e64 s[0:1], s[10:11], 2
	v_mov_b32_e32 v1, 0
	v_lshl_add_u32 v5, s6, 1, v9
	v_mov_b32_e32 v6, v3
	s_and_b64 vcc, exec, s[0:1]
	v_mov_b32_e32 v2, 0
	s_cbranch_vccnz .LBB0_8
; %bb.1:
	s_load_dwordx2 s[0:1], s[4:5], 0x10
	s_add_u32 s6, s2, 8
	s_addc_u32 s7, s3, 0
	v_mov_b32_e32 v1, 0
	v_mov_b32_e32 v2, 0
	s_waitcnt lgkmcnt(0)
	s_add_u32 s14, s0, 8
	s_addc_u32 s15, s1, 0
	s_mov_b64 s[16:17], 1
.LBB0_2:                                ; =>This Inner Loop Header: Depth=1
	s_load_dwordx2 s[18:19], s[14:15], 0x0
                                        ; implicit-def: $vgpr7_vgpr8
	s_waitcnt lgkmcnt(0)
	v_or_b32_e32 v4, s19, v6
	v_cmp_ne_u64_e32 vcc, 0, v[3:4]
	s_and_saveexec_b64 s[0:1], vcc
	s_xor_b64 s[20:21], exec, s[0:1]
	s_cbranch_execz .LBB0_4
; %bb.3:                                ;   in Loop: Header=BB0_2 Depth=1
	v_cvt_f32_u32_e32 v4, s18
	v_cvt_f32_u32_e32 v7, s19
	s_sub_u32 s0, 0, s18
	s_subb_u32 s1, 0, s19
	v_mac_f32_e32 v4, 0x4f800000, v7
	v_rcp_f32_e32 v4, v4
	v_mul_f32_e32 v4, 0x5f7ffffc, v4
	v_mul_f32_e32 v7, 0x2f800000, v4
	v_trunc_f32_e32 v7, v7
	v_mac_f32_e32 v4, 0xcf800000, v7
	v_cvt_u32_f32_e32 v7, v7
	v_cvt_u32_f32_e32 v4, v4
	v_mul_lo_u32 v8, s0, v7
	v_mul_hi_u32 v10, s0, v4
	v_mul_lo_u32 v12, s1, v4
	v_mul_lo_u32 v11, s0, v4
	v_add_u32_e32 v8, v10, v8
	v_add_u32_e32 v8, v8, v12
	v_mul_hi_u32 v10, v4, v11
	v_mul_lo_u32 v12, v4, v8
	v_mul_hi_u32 v14, v4, v8
	v_mul_hi_u32 v13, v7, v11
	v_mul_lo_u32 v11, v7, v11
	v_mul_hi_u32 v15, v7, v8
	v_add_co_u32_e32 v10, vcc, v10, v12
	v_addc_co_u32_e32 v12, vcc, 0, v14, vcc
	v_mul_lo_u32 v8, v7, v8
	v_add_co_u32_e32 v10, vcc, v10, v11
	v_addc_co_u32_e32 v10, vcc, v12, v13, vcc
	v_addc_co_u32_e32 v11, vcc, 0, v15, vcc
	v_add_co_u32_e32 v8, vcc, v10, v8
	v_addc_co_u32_e32 v10, vcc, 0, v11, vcc
	v_add_co_u32_e32 v4, vcc, v4, v8
	v_addc_co_u32_e32 v7, vcc, v7, v10, vcc
	v_mul_lo_u32 v8, s0, v7
	v_mul_hi_u32 v10, s0, v4
	v_mul_lo_u32 v11, s1, v4
	v_mul_lo_u32 v12, s0, v4
	v_add_u32_e32 v8, v10, v8
	v_add_u32_e32 v8, v8, v11
	v_mul_lo_u32 v13, v4, v8
	v_mul_hi_u32 v14, v4, v12
	v_mul_hi_u32 v15, v4, v8
	;; [unrolled: 1-line block ×3, first 2 shown]
	v_mul_lo_u32 v12, v7, v12
	v_mul_hi_u32 v10, v7, v8
	v_add_co_u32_e32 v13, vcc, v14, v13
	v_addc_co_u32_e32 v14, vcc, 0, v15, vcc
	v_mul_lo_u32 v8, v7, v8
	v_add_co_u32_e32 v12, vcc, v13, v12
	v_addc_co_u32_e32 v11, vcc, v14, v11, vcc
	v_addc_co_u32_e32 v10, vcc, 0, v10, vcc
	v_add_co_u32_e32 v8, vcc, v11, v8
	v_addc_co_u32_e32 v10, vcc, 0, v10, vcc
	v_add_co_u32_e32 v4, vcc, v4, v8
	v_addc_co_u32_e32 v10, vcc, v7, v10, vcc
	v_mad_u64_u32 v[7:8], s[0:1], v5, v10, 0
	v_mul_hi_u32 v11, v5, v4
	v_add_co_u32_e32 v12, vcc, v11, v7
	v_addc_co_u32_e32 v13, vcc, 0, v8, vcc
	v_mad_u64_u32 v[7:8], s[0:1], v6, v4, 0
	v_mad_u64_u32 v[10:11], s[0:1], v6, v10, 0
	v_add_co_u32_e32 v4, vcc, v12, v7
	v_addc_co_u32_e32 v4, vcc, v13, v8, vcc
	v_addc_co_u32_e32 v7, vcc, 0, v11, vcc
	v_add_co_u32_e32 v4, vcc, v4, v10
	v_addc_co_u32_e32 v10, vcc, 0, v7, vcc
	v_mul_lo_u32 v11, s19, v4
	v_mul_lo_u32 v12, s18, v10
	v_mad_u64_u32 v[7:8], s[0:1], s18, v4, 0
	v_add3_u32 v8, v8, v12, v11
	v_sub_u32_e32 v11, v6, v8
	v_mov_b32_e32 v12, s19
	v_sub_co_u32_e32 v7, vcc, v5, v7
	v_subb_co_u32_e64 v11, s[0:1], v11, v12, vcc
	v_subrev_co_u32_e64 v12, s[0:1], s18, v7
	v_subbrev_co_u32_e64 v11, s[0:1], 0, v11, s[0:1]
	v_cmp_le_u32_e64 s[0:1], s19, v11
	v_cndmask_b32_e64 v13, 0, -1, s[0:1]
	v_cmp_le_u32_e64 s[0:1], s18, v12
	v_cndmask_b32_e64 v12, 0, -1, s[0:1]
	v_cmp_eq_u32_e64 s[0:1], s19, v11
	v_cndmask_b32_e64 v11, v13, v12, s[0:1]
	v_add_co_u32_e64 v12, s[0:1], 2, v4
	v_addc_co_u32_e64 v13, s[0:1], 0, v10, s[0:1]
	v_add_co_u32_e64 v14, s[0:1], 1, v4
	v_addc_co_u32_e64 v15, s[0:1], 0, v10, s[0:1]
	v_subb_co_u32_e32 v8, vcc, v6, v8, vcc
	v_cmp_ne_u32_e64 s[0:1], 0, v11
	v_cmp_le_u32_e32 vcc, s19, v8
	v_cndmask_b32_e64 v11, v15, v13, s[0:1]
	v_cndmask_b32_e64 v13, 0, -1, vcc
	v_cmp_le_u32_e32 vcc, s18, v7
	v_cndmask_b32_e64 v7, 0, -1, vcc
	v_cmp_eq_u32_e32 vcc, s19, v8
	v_cndmask_b32_e32 v7, v13, v7, vcc
	v_cmp_ne_u32_e32 vcc, 0, v7
	v_cndmask_b32_e64 v7, v14, v12, s[0:1]
	v_cndmask_b32_e32 v8, v10, v11, vcc
	v_cndmask_b32_e32 v7, v4, v7, vcc
.LBB0_4:                                ;   in Loop: Header=BB0_2 Depth=1
	s_andn2_saveexec_b64 s[0:1], s[20:21]
	s_cbranch_execz .LBB0_6
; %bb.5:                                ;   in Loop: Header=BB0_2 Depth=1
	v_cvt_f32_u32_e32 v4, s18
	s_sub_i32 s20, 0, s18
	v_rcp_iflag_f32_e32 v4, v4
	v_mul_f32_e32 v4, 0x4f7ffffe, v4
	v_cvt_u32_f32_e32 v4, v4
	v_mul_lo_u32 v7, s20, v4
	v_mul_hi_u32 v7, v4, v7
	v_add_u32_e32 v4, v4, v7
	v_mul_hi_u32 v4, v5, v4
	v_mul_lo_u32 v7, v4, s18
	v_add_u32_e32 v8, 1, v4
	v_sub_u32_e32 v7, v5, v7
	v_subrev_u32_e32 v10, s18, v7
	v_cmp_le_u32_e32 vcc, s18, v7
	v_cndmask_b32_e32 v7, v7, v10, vcc
	v_cndmask_b32_e32 v4, v4, v8, vcc
	v_add_u32_e32 v8, 1, v4
	v_cmp_le_u32_e32 vcc, s18, v7
	v_cndmask_b32_e32 v7, v4, v8, vcc
	v_mov_b32_e32 v8, v3
.LBB0_6:                                ;   in Loop: Header=BB0_2 Depth=1
	s_or_b64 exec, exec, s[0:1]
	v_mul_lo_u32 v4, v8, s18
	v_mul_lo_u32 v12, v7, s19
	v_mad_u64_u32 v[10:11], s[0:1], v7, s18, 0
	s_load_dwordx2 s[0:1], s[6:7], 0x0
	s_add_u32 s16, s16, 1
	v_add3_u32 v4, v11, v12, v4
	v_sub_co_u32_e32 v5, vcc, v5, v10
	v_subb_co_u32_e32 v4, vcc, v6, v4, vcc
	s_waitcnt lgkmcnt(0)
	v_mul_lo_u32 v4, s0, v4
	v_mul_lo_u32 v6, s1, v5
	v_mad_u64_u32 v[1:2], s[0:1], s0, v5, v[1:2]
	s_addc_u32 s17, s17, 0
	s_add_u32 s6, s6, 8
	v_add3_u32 v2, v6, v2, v4
	v_mov_b32_e32 v4, s10
	v_mov_b32_e32 v5, s11
	s_addc_u32 s7, s7, 0
	v_cmp_ge_u64_e32 vcc, s[16:17], v[4:5]
	s_add_u32 s14, s14, 8
	s_addc_u32 s15, s15, 0
	s_cbranch_vccnz .LBB0_9
; %bb.7:                                ;   in Loop: Header=BB0_2 Depth=1
	v_mov_b32_e32 v5, v7
	v_mov_b32_e32 v6, v8
	s_branch .LBB0_2
.LBB0_8:
	v_mov_b32_e32 v8, v6
	v_mov_b32_e32 v7, v5
.LBB0_9:
	s_lshl_b64 s[0:1], s[10:11], 3
	s_add_u32 s0, s2, s0
	s_addc_u32 s1, s3, s1
	s_load_dwordx2 s[2:3], s[0:1], 0x0
	s_load_dwordx2 s[6:7], s[4:5], 0x20
	v_mov_b32_e32 v11, 0
	v_mov_b32_e32 v32, 0
                                        ; implicit-def: $vgpr13
                                        ; implicit-def: $vgpr25
                                        ; implicit-def: $vgpr14
                                        ; implicit-def: $vgpr26
                                        ; implicit-def: $vgpr15
                                        ; implicit-def: $vgpr27
                                        ; implicit-def: $vgpr16
                                        ; implicit-def: $vgpr28
                                        ; implicit-def: $vgpr17
                                        ; implicit-def: $vgpr29
                                        ; implicit-def: $vgpr18
                                        ; implicit-def: $vgpr30
                                        ; implicit-def: $vgpr19
                                        ; implicit-def: $vgpr20
                                        ; implicit-def: $vgpr31
                                        ; implicit-def: $vgpr21
                                        ; implicit-def: $vgpr33
                                        ; implicit-def: $vgpr23
                                        ; implicit-def: $vgpr35
                                        ; implicit-def: $vgpr24
                                        ; implicit-def: $vgpr37
                                        ; implicit-def: $vgpr22
                                        ; implicit-def: $vgpr34
	s_waitcnt lgkmcnt(0)
	v_mad_u64_u32 v[3:4], s[0:1], s2, v7, v[1:2]
	s_mov_b32 s0, 0x2d02d03
	v_mul_hi_u32 v1, v0, s0
	v_mul_lo_u32 v5, s2, v8
	v_mul_lo_u32 v6, s3, v7
	v_cmp_gt_u64_e32 vcc, s[6:7], v[7:8]
	v_mul_u32_u24_e32 v1, 0x5b, v1
	v_add3_u32 v4, v6, v4, v5
	v_sub_u32_e32 v6, v0, v1
	v_mov_b32_e32 v5, 0
	s_and_saveexec_b64 s[2:3], vcc
	s_cbranch_execz .LBB0_13
; %bb.10:
	s_movk_i32 s0, 0x4d
	v_cmp_gt_u32_e64 s[0:1], s0, v6
	v_mov_b32_e32 v32, 0
	v_mov_b32_e32 v11, 0
                                        ; implicit-def: $vgpr34
                                        ; implicit-def: $vgpr22
                                        ; implicit-def: $vgpr37
                                        ; implicit-def: $vgpr24
                                        ; implicit-def: $vgpr35
                                        ; implicit-def: $vgpr23
                                        ; implicit-def: $vgpr33
                                        ; implicit-def: $vgpr21
                                        ; implicit-def: $vgpr31
                                        ; implicit-def: $vgpr20
                                        ; implicit-def: $vgpr19
                                        ; implicit-def: $vgpr30
                                        ; implicit-def: $vgpr18
                                        ; implicit-def: $vgpr29
                                        ; implicit-def: $vgpr17
                                        ; implicit-def: $vgpr28
                                        ; implicit-def: $vgpr16
                                        ; implicit-def: $vgpr27
                                        ; implicit-def: $vgpr15
                                        ; implicit-def: $vgpr26
                                        ; implicit-def: $vgpr14
                                        ; implicit-def: $vgpr25
                                        ; implicit-def: $vgpr13
	s_and_saveexec_b64 s[4:5], s[0:1]
	s_cbranch_execz .LBB0_12
; %bb.11:
	v_lshlrev_b64 v[0:1], 2, v[3:4]
	v_mov_b32_e32 v7, 0
	v_mov_b32_e32 v2, s13
	v_add_co_u32_e64 v5, s[0:1], s12, v0
	v_addc_co_u32_e64 v2, s[0:1], v2, v1, s[0:1]
	v_lshlrev_b64 v[0:1], 2, v[6:7]
	v_add_co_u32_e64 v0, s[0:1], v5, v0
	v_addc_co_u32_e64 v1, s[0:1], v2, v1, s[0:1]
	global_load_dword v2, v[0:1], off
	global_load_dword v25, v[0:1], off offset:308
	global_load_dword v26, v[0:1], off offset:616
	;; [unrolled: 1-line block ×12, first 2 shown]
	s_mov_b32 s0, 0x5040100
	s_waitcnt vmcnt(12)
	v_lshrrev_b32_e32 v11, 16, v2
	s_waitcnt vmcnt(11)
	v_lshrrev_b32_e32 v13, 16, v25
	;; [unrolled: 2-line block ×11, first 2 shown]
	v_perm_b32 v32, v2, v5, s0
	s_waitcnt vmcnt(1)
	v_lshrrev_b32_e32 v23, 16, v35
	s_waitcnt vmcnt(0)
	v_lshrrev_b32_e32 v24, 16, v37
.LBB0_12:
	s_or_b64 exec, exec, s[4:5]
	v_mov_b32_e32 v5, v6
.LBB0_13:
	s_or_b64 exec, exec, s[2:3]
	s_mov_b32 s0, 0xbbf1b770
	v_sub_f16_e32 v51, v13, v24
	v_add_f16_e32 v40, v25, v37
	s_mov_b32 s4, 0x2fb73b15
	v_pk_mul_f16 v1, v51, s0 op_sel_hi:[0,1]
	s_mov_b32 s0, 0xb3a8ba95
	v_sub_f16_e32 v52, v14, v23
	v_pk_fma_f16 v0, v40, s4, v1 op_sel_hi:[0,1,1] neg_lo:[0,0,1] neg_hi:[0,0,1]
	s_mov_b32 s5, 0xbbc4388b
	v_add_f16_e32 v47, v26, v35
	v_pk_mul_f16 v2, v52, s0 op_sel_hi:[0,1]
	s_mov_b32 s0, 0x3b7bbbf1
	v_sub_f16_e32 v54, v15, v22
	v_pk_add_f16 v0, v32, v0 op_sel:[1,0]
	v_pk_fma_f16 v7, v47, s5, v2 op_sel_hi:[0,1,1] neg_lo:[0,0,1] neg_hi:[0,0,1]
	s_mov_b32 s6, 0xb5ac2fb7
	v_add_f16_e32 v48, v27, v34
	v_pk_mul_f16 v8, v54, s0 op_sel_hi:[0,1]
	s_mov_b32 s0, 0x3770bb7b
	v_sub_f16_e32 v55, v16, v21
	v_pk_add_f16 v0, v7, v0
	v_pk_fma_f16 v7, v48, s6, v8 op_sel_hi:[0,1,1] neg_lo:[0,0,1] neg_hi:[0,0,1]
	s_mov_b32 s7, 0x3b15b5ac
	v_add_f16_e32 v49, v28, v33
	v_pk_mul_f16 v36, v55, s0 op_sel_hi:[0,1]
	s_mov_b32 s1, 0xba95b94e
	v_sub_f16_e32 v56, v17, v20
	v_pk_add_f16 v0, v0, v7
	;; [unrolled: 7-line block ×3, first 2 shown]
	v_pk_fma_f16 v7, v50, s10, v38 op_sel_hi:[0,1,1] neg_lo:[0,0,1] neg_hi:[0,0,1]
	s_mov_b32 s11, 0xb9fdbbc4
	v_add_f16_e32 v53, v30, v32
	v_pk_mul_f16 v39, v57, s2 op_sel_hi:[0,1]
	s_mov_b32 s3, 0xba95bb7b
	v_pk_add_f16 v0, v7, v0
	v_pk_fma_f16 v7, v53, s11, v39 op_sel_hi:[0,1,1] neg_lo:[0,0,1] neg_hi:[0,0,1]
	s_mov_b32 s14, 0x388bb5ac
	v_pk_mul_f16 v41, v51, s3 op_sel_hi:[0,1]
	s_mov_b32 s3, 0xbb7b394e
	v_pk_add_f16 v10, v7, v0
	v_pk_fma_f16 v0, v40, s14, v41 op_sel_hi:[0,1,1] neg_lo:[0,0,1] neg_hi:[0,0,1]
	s_mov_b32 s15, 0xb5acb9fd
	v_pk_mul_f16 v42, v52, s3 op_sel_hi:[0,1]
	s_mov_b32 s3, 0xb3a83770
	v_pk_add_f16 v0, v32, v0 op_sel:[1,0]
	v_pk_fma_f16 v7, v47, s15, v42 op_sel_hi:[0,1,1] neg_lo:[0,0,1] neg_hi:[0,0,1]
	s_mov_b32 s16, 0xbbc43b15
	v_pk_mul_f16 v43, v54, s3 op_sel_hi:[0,1]
	s_mov_b32 s3, 0x394ebbf1
	v_pk_add_f16 v0, v7, v0
	v_pk_fma_f16 v7, v48, s16, v43 op_sel_hi:[0,1,1] neg_lo:[0,0,1] neg_hi:[0,0,1]
	s_mov_b32 s17, 0xb9fd2fb7
	v_pk_mul_f16 v44, v55, s3 op_sel_hi:[0,1]
	s_mov_b32 s3, 0x3bf133a8
	v_pk_add_f16 v0, v0, v7
	;; [unrolled: 5-line block ×3, first 2 shown]
	v_pk_fma_f16 v7, v50, s18, v45 op_sel_hi:[0,1,1] neg_lo:[0,0,1] neg_hi:[0,0,1]
	s_mov_b32 s19, 0x3b15388b
	v_pk_mul_f16 v46, v57, s3 op_sel_hi:[0,1]
	v_pk_add_f16 v0, v7, v0
	v_pk_fma_f16 v7, v53, s19, v46 op_sel_hi:[0,1,1] neg_lo:[0,0,1] neg_hi:[0,0,1]
	v_pk_mul_f16 v58, v51, s2 op_sel_hi:[0,1]
	s_mov_b32 s2, 0x3bf13770
	v_pk_add_f16 v12, v7, v0
	v_pk_fma_f16 v0, v40, s11, v58 op_sel_hi:[0,1,1] neg_lo:[0,0,1] neg_hi:[0,0,1]
	v_pk_mul_f16 v59, v52, s2 op_sel_hi:[0,1]
	v_pk_add_f16 v0, v32, v0 op_sel:[1,0]
	v_pk_fma_f16 v7, v47, s4, v59 op_sel_hi:[0,1,1] neg_lo:[0,0,1] neg_hi:[0,0,1]
	v_pk_mul_f16 v60, v54, s1 op_sel_hi:[0,1]
	s_mov_b32 s1, 0x33a83a95
	v_pk_add_f16 v0, v7, v0
	v_pk_fma_f16 v7, v48, s10, v60 op_sel_hi:[0,1,1] neg_lo:[0,0,1] neg_hi:[0,0,1]
	v_pk_mul_f16 v61, v55, s1 op_sel_hi:[0,1]
	v_pk_add_f16 v0, v0, v7
	v_pk_fma_f16 v7, v49, s5, v61 op_sel_hi:[0,1,1] neg_lo:[0,0,1] neg_hi:[0,0,1]
	v_pk_mul_f16 v62, v56, s0 op_sel_hi:[0,1]
	v_pk_add_f16 v0, v7, v0
	v_pk_fma_f16 v7, v50, s7, v62 op_sel_hi:[0,1,1] neg_lo:[0,0,1] neg_hi:[0,0,1]
	v_pk_add_f16 v0, v7, v0
	v_and_b32_e32 v7, 1, v9
	v_mov_b32_e32 v9, 0x3e9
	v_cmp_eq_u32_e64 s[0:1], 1, v7
	v_cndmask_b32_e64 v7, 0, v9, s[0:1]
	s_mov_b32 s0, 0xbb7b3bf1
	v_pk_mul_f16 v9, v57, s0 op_sel_hi:[0,1]
	s_movk_i32 s1, 0x4d
	v_pk_fma_f16 v63, v53, s6, v9 op_sel_hi:[0,1,1] neg_lo:[0,0,1] neg_hi:[0,0,1]
	v_cmp_gt_u32_e64 s[2:3], s1, v6
	v_lshlrev_b32_e32 v7, 1, v7
	v_pk_add_f16 v0, v63, v0
	s_and_saveexec_b64 s[0:1], s[2:3]
	s_cbranch_execz .LBB0_15
; %bb.14:
	v_pack_b32_f16 v63, v40, v40
	v_pk_mul_f16 v64, v40, s4 op_sel_hi:[0,1]
	v_pack_b32_f16 v74, v53, v53
	v_pk_mul_f16 v75, v53, s11 op_sel_hi:[0,1]
	v_pk_mul_f16 v76, v40, s14 op_sel_hi:[0,1]
	;; [unrolled: 1-line block ×5, first 2 shown]
	v_pack_b32_f16 v66, v47, v47
	v_pk_mul_f16 v67, v47, s5 op_sel_hi:[0,1]
	v_pk_mul_f16 v77, v47, s15 op_sel_hi:[0,1]
	;; [unrolled: 1-line block ×3, first 2 shown]
	v_add_f16_e32 v40, v58, v40
	v_add_f16_e32 v9, v9, v53
	v_add_f16_sdwa v53, v32, v25 dst_sel:DWORD dst_unused:UNUSED_PAD src0_sel:WORD_1 src1_sel:DWORD
	v_pack_b32_f16 v68, v48, v48
	v_pk_mul_f16 v69, v48, s6 op_sel_hi:[0,1]
	v_pk_mul_f16 v78, v48, s16 op_sel_hi:[0,1]
	;; [unrolled: 1-line block ×3, first 2 shown]
	v_add_f16_sdwa v40, v32, v40 dst_sel:DWORD dst_unused:UNUSED_PAD src0_sel:WORD_1 src1_sel:DWORD
	v_add_f16_e32 v47, v59, v47
	v_add_f16_e32 v53, v53, v26
	v_pack_b32_f16 v70, v49, v49
	v_pk_mul_f16 v71, v49, s7 op_sel_hi:[0,1]
	v_pk_mul_f16 v79, v49, s17 op_sel_hi:[0,1]
	v_pk_mul_f16 v49, v49, s5 op_sel_hi:[0,1]
	v_add_f16_e32 v40, v47, v40
	v_add_f16_e32 v47, v60, v48
	;; [unrolled: 1-line block ×3, first 2 shown]
	v_pack_b32_f16 v72, v50, v50
	v_pk_mul_f16 v73, v50, s10 op_sel_hi:[0,1]
	v_pk_mul_f16 v80, v50, s18 op_sel_hi:[0,1]
	;; [unrolled: 1-line block ×3, first 2 shown]
	v_add_f16_e32 v40, v40, v47
	v_add_f16_e32 v47, v61, v49
	;; [unrolled: 1-line block ×3, first 2 shown]
	s_mov_b32 s20, 0x7060302
	v_add_f16_e32 v40, v47, v40
	v_add_f16_e32 v47, v62, v50
	v_add_f16_e32 v53, v53, v29
	s_mov_b32 s4, 0x5040100
	v_add_f16_e32 v40, v47, v40
	v_perm_b32 v53, v1, v53, s4
	v_perm_b32 v1, v1, v41, s20
	;; [unrolled: 1-line block ×4, first 2 shown]
	v_add_f16_e32 v9, v9, v40
	v_pk_add_f16 v40, v2, v67
	v_pk_add_f16 v1, v1, v41
	v_perm_b32 v2, v2, v42, s20
	v_perm_b32 v41, v67, v77, s20
	v_pk_add_f16 v1, v65, v1
	v_pk_add_f16 v2, v2, v41
	;; [unrolled: 1-line block ×4, first 2 shown]
	v_perm_b32 v2, v8, v43, s20
	v_perm_b32 v8, v69, v78, s20
	v_pk_add_f16 v2, v2, v8
	v_perm_b32 v59, v64, v30, s4
	v_pk_add_f16 v1, v1, v2
	v_perm_b32 v2, v36, v44, s20
	v_perm_b32 v8, v71, v79, s20
	v_pk_add_f16 v53, v53, v59
	v_pk_add_f16 v2, v2, v8
	;; [unrolled: 1-line block ×3, first 2 shown]
	v_perm_b32 v40, v40, v31, s4
	v_pk_add_f16 v1, v2, v1
	v_perm_b32 v2, v38, v45, s20
	v_perm_b32 v8, v73, v80, s20
	v_pk_add_f16 v48, v36, v71
	v_pk_add_f16 v40, v53, v40
	v_perm_b32 v47, v47, v33, s4
	v_pk_add_f16 v2, v2, v8
	v_pk_add_f16 v49, v38, v73
	;; [unrolled: 1-line block ×3, first 2 shown]
	v_perm_b32 v47, v48, v34, s4
	v_pk_add_f16 v1, v2, v1
	v_perm_b32 v2, v39, v46, s20
	v_perm_b32 v8, v75, v81, s20
	v_pk_add_f16 v50, v39, v75
	v_pk_add_f16 v40, v40, v47
	v_perm_b32 v47, v49, v35, s4
	v_pk_add_f16 v2, v2, v8
	s_mov_b32 s5, 0xb9fdb5ac
	v_pack_b32_f16 v51, v51, v51
	v_pk_add_f16 v40, v47, v40
	v_perm_b32 v47, v50, v37, s4
	v_pk_add_f16 v41, v2, v1
	s_mov_b32 s4, 0xb94ebb7b
	v_pk_mul_f16 v1, v63, s5
	s_mov_b32 s5, 0x2fb7b9fd
	v_pack_b32_f16 v52, v52, v52
	v_pk_fma_f16 v1, v51, s4, v1
	s_mov_b32 s4, 0x3bf1394e
	v_pk_mul_f16 v2, v66, s5
	v_pk_add_f16 v1, v65, v1
	v_pk_fma_f16 v2, v52, s4, v2
	s_mov_b32 s5, 0x388b3b15
	v_pack_b32_f16 v54, v54, v54
	v_pk_add_f16 v1, v2, v1
	s_mov_b32 s4, 0xba953770
	v_pk_mul_f16 v2, v68, s5
	v_pk_fma_f16 v2, v54, s4, v2
	s_mov_b32 s5, 0xbbc42fb7
	v_pack_b32_f16 v55, v55, v55
	v_pk_add_f16 v1, v1, v2
	s_mov_b32 s4, 0x33a8bbf1
	v_pk_mul_f16 v2, v70, s5
	;; [unrolled: 6-line block ×4, first 2 shown]
	v_mul_u32_u24_e32 v58, 26, v6
	v_pk_fma_f16 v2, v57, s4, v2
	s_mov_b32 s4, 0xffff
	v_add3_u32 v58, 0, v58, v7
	v_pk_add_f16 v40, v47, v40
	v_pk_add_f16 v42, v2, v1
	v_bfi_b32 v1, s4, v12, v10
	v_alignbit_b32 v2, v10, v12, 16
	ds_write_b96 v58, v[40:42]
	ds_write_b16 v58, v9 offset:12
	ds_write_b96 v58, v[0:2] offset:14
.LBB0_15:
	s_or_b64 exec, exec, s[0:1]
	v_lshlrev_b32_e32 v1, 1, v6
	v_add3_u32 v9, 0, v7, v1
	v_add_u32_e32 v1, 0, v1
	s_waitcnt lgkmcnt(0)
	s_barrier
	v_add_u32_e32 v8, v1, v7
	ds_read_u16 v36, v9
	ds_read_u16 v44, v8 offset:286
	ds_read_u16 v43, v8 offset:572
	;; [unrolled: 1-line block ×6, first 2 shown]
	v_cmp_gt_u32_e64 s[0:1], 52, v6
                                        ; implicit-def: $vgpr38
	s_and_saveexec_b64 s[4:5], s[0:1]
	s_cbranch_execz .LBB0_17
; %bb.16:
	ds_read_u16 v0, v8 offset:182
	ds_read_u16 v2, v8 offset:468
	;; [unrolled: 1-line block ×7, first 2 shown]
	s_mov_b32 s6, 0x5040100
	s_waitcnt lgkmcnt(5)
	v_perm_b32 v0, v2, v0, s6
	s_waitcnt lgkmcnt(2)
	v_perm_b32 v12, v12, v10, s6
	;; [unrolled: 2-line block ×3, first 2 shown]
.LBB0_17:
	s_or_b64 exec, exec, s[4:5]
	v_sub_f16_e32 v64, v25, v37
	s_mov_b32 s4, 0xb770ba95
	v_add_f16_e32 v45, v13, v24
	v_sub_f16_e32 v63, v26, v35
	v_sub_f16_e32 v61, v28, v33
	s_mov_b32 s6, 0x3b15388b
	v_pk_mul_f16 v33, v64, s4 op_sel_hi:[0,1]
	s_mov_b32 s4, 0xba95bb7b
	v_add_f16_e32 v37, v14, v23
	v_sub_f16_e32 v62, v27, v34
	v_pk_fma_f16 v2, v45, s6, v33 op_sel_hi:[0,1,1]
	s_mov_b32 s7, 0x388bb5ac
	v_pk_mul_f16 v34, v63, s4 op_sel_hi:[0,1]
	s_mov_b32 s4, 0xbbf1b3a8
	v_add_f16_e32 v46, v15, v22
	v_pk_add_f16 v2, v11, v2 op_sel_hi:[0,1]
	v_pk_fma_f16 v25, v37, s7, v34 op_sel_hi:[0,1,1]
	s_mov_b32 s10, 0x2fb7bbc4
	v_pk_mul_f16 v35, v62, s4 op_sel_hi:[0,1]
	s_mov_b32 s4, 0xbb7b394e
	v_add_f16_e32 v47, v16, v21
	v_sub_f16_e32 v60, v29, v31
	v_pk_add_f16 v2, v25, v2
	v_pk_fma_f16 v25, v46, s10, v35 op_sel_hi:[0,1,1]
	s_mov_b32 s11, 0xb5acb9fd
	v_pk_mul_f16 v49, v61, s4 op_sel_hi:[0,1]
	s_mov_b32 s4, 0xb94e3bf1
	v_add_f16_e32 v48, v17, v20
	v_sub_f16_e32 v59, v30, v32
	v_pk_add_f16 v2, v2, v25
	v_pk_fma_f16 v25, v47, s11, v49 op_sel_hi:[0,1,1]
	s_mov_b32 s14, 0xb9fd2fb7
	v_pk_mul_f16 v52, v60, s4 op_sel_hi:[0,1]
	s_mov_b32 s4, 0xb3a83770
	v_add_f16_e32 v50, v18, v19
	v_pk_add_f16 v2, v25, v2
	v_pk_fma_f16 v25, v48, s14, v52 op_sel_hi:[0,1,1]
	s_mov_b32 s15, 0xbbc43b15
	v_pk_mul_f16 v56, v59, s4 op_sel_hi:[0,1]
	s_mov_b32 s4, 0xb94ebbf1
	v_pk_add_f16 v2, v25, v2
	v_pk_fma_f16 v25, v50, s15, v56 op_sel_hi:[0,1,1]
	v_pk_mul_f16 v27, v64, s4 op_sel_hi:[0,1]
	s_mov_b32 s4, 0x3bf1b3a8
	v_pk_add_f16 v2, v25, v2
	v_pk_fma_f16 v25, v45, s14, v27 op_sel_hi:[0,1,1]
	v_pk_mul_f16 v28, v63, s4 op_sel_hi:[0,1]
	s_mov_b32 s4, 0xba953b7b
	v_pk_add_f16 v25, v11, v25 op_sel_hi:[0,1]
	v_pk_fma_f16 v26, v37, s10, v28 op_sel_hi:[0,1,1]
	v_pk_mul_f16 v29, v62, s4 op_sel_hi:[0,1]
	s_mov_b32 s4, 0x33a83770
	v_pk_add_f16 v25, v26, v25
	v_pk_fma_f16 v26, v46, s7, v29 op_sel_hi:[0,1,1]
	v_pk_mul_f16 v30, v61, s4 op_sel_hi:[0,1]
	s_mov_b32 s4, 0x3770ba95
	v_pk_add_f16 v25, v25, v26
	;; [unrolled: 4-line block ×4, first 2 shown]
	v_pk_fma_f16 v26, v50, s11, v32 op_sel_hi:[0,1,1]
	s_mov_b32 s16, 0xb5acbbc4
	v_pk_mul_f16 v51, v64, s4 op_sel_hi:[0,1]
	s_mov_b32 s4, 0x394e3770
	v_pk_add_f16 v26, v26, v25
	v_pk_fma_f16 v25, v45, s16, v51 op_sel_hi:[0,1,1]
	s_mov_b32 s17, 0xb9fd3b15
	v_pk_mul_f16 v53, v63, s4 op_sel_hi:[0,1]
	v_pk_add_f16 v25, v11, v25 op_sel_hi:[0,1]
	v_pk_fma_f16 v54, v37, s17, v53 op_sel_hi:[0,1,1]
	s_mov_b32 s4, 0x3770b94e
	v_pk_add_f16 v25, v54, v25
	s_mov_b32 s18, 0x3b15b9fd
	v_pk_mul_f16 v54, v62, s4 op_sel_hi:[0,1]
	v_pk_fma_f16 v55, v46, s18, v54 op_sel_hi:[0,1,1]
	s_mov_b32 s4, 0xbbf13a95
	v_pk_add_f16 v25, v25, v55
	s_mov_b32 s19, 0x2fb7388b
	v_pk_mul_f16 v55, v61, s4 op_sel_hi:[0,1]
	v_pk_fma_f16 v57, v47, s19, v55 op_sel_hi:[0,1,1]
	s_mov_b32 s4, 0x33a8bb7b
	v_pk_add_f16 v25, v57, v25
	s_mov_b32 s20, 0xbbc4b5ac
	v_pk_mul_f16 v57, v60, s4 op_sel_hi:[0,1]
	v_pk_fma_f16 v58, v48, s20, v57 op_sel_hi:[0,1,1]
	s_mov_b32 s4, 0x3a953bf1
	v_pk_add_f16 v25, v58, v25
	s_mov_b32 s21, 0x388b2fb7
	v_pk_mul_f16 v58, v59, s4 op_sel_hi:[0,1]
	v_pk_fma_f16 v65, v50, s21, v58 op_sel_hi:[0,1,1]
	v_pk_add_f16 v25, v65, v25
	s_waitcnt lgkmcnt(0)
	s_barrier
	s_and_saveexec_b64 s[4:5], s[2:3]
	s_cbranch_execz .LBB0_19
; %bb.18:
	v_pk_mul_f16 v66, v45, s6 op_sel_hi:[0,1]
	s_mov_b32 s2, 0x5040100
	v_perm_b32 v67, v11, v11, s2
	v_pk_mul_f16 v69, v37, s7 op_sel_hi:[0,1]
	v_add_f16_e32 v11, v11, v13
	v_pk_add_f16 v13, v66, v33 neg_lo:[0,1] neg_hi:[0,1]
	v_pk_mul_f16 v71, v46, s10 op_sel_hi:[0,1]
	v_add_f16_e32 v11, v11, v14
	v_pk_add_f16 v13, v67, v13
	v_pk_add_f16 v14, v69, v34 neg_lo:[0,1] neg_hi:[0,1]
	v_pk_mul_f16 v73, v47, s11 op_sel_hi:[0,1]
	v_pk_add_f16 v13, v14, v13
	v_pk_add_f16 v14, v71, v35 neg_lo:[0,1] neg_hi:[0,1]
	v_pk_mul_f16 v75, v48, s14 op_sel_hi:[0,1]
	;; [unrolled: 3-line block ×3, first 2 shown]
	v_pk_add_f16 v13, v14, v13
	v_pk_add_f16 v14, v75, v52 neg_lo:[0,1] neg_hi:[0,1]
	v_pack_b32_f16 v64, v64, v64
	v_pk_add_f16 v13, v14, v13
	v_pk_add_f16 v14, v77, v56 neg_lo:[0,1] neg_hi:[0,1]
	s_mov_b32 s3, 0x3b7b3bf1
	v_pack_b32_f16 v65, v45, v45
	v_pack_b32_f16 v63, v63, v63
	v_pk_add_f16 v13, v14, v13
	s_mov_b32 s2, 0xb5ac2fb7
	v_pk_mul_f16 v14, v64, s3
	s_mov_b32 s3, 0xb94e33a8
	v_pack_b32_f16 v68, v37, v37
	v_add_f16_e32 v11, v11, v15
	v_pk_fma_f16 v14, v65, s2, v14
	s_mov_b32 s2, 0xb9fdbbc4
	v_pk_mul_f16 v15, v63, s3
	v_pack_b32_f16 v62, v62, v62
	v_pk_add_f16 v14, v67, v14
	v_pk_fma_f16 v15, v68, s2, v15
	s_mov_b32 s3, 0xb770bb7b
	v_pack_b32_f16 v70, v46, v46
	v_pk_add_f16 v14, v15, v14
	s_mov_b32 s2, 0x3b15b5ac
	v_pk_mul_f16 v15, v62, s3
	v_pack_b32_f16 v61, v61, v61
	v_pk_fma_f16 v15, v70, s2, v15
	s_mov_b32 s3, 0x3bf1b770
	v_pack_b32_f16 v72, v47, v47
	v_pk_add_f16 v14, v14, v15
	s_mov_b32 s2, 0x2fb73b15
	v_pk_mul_f16 v15, v61, s3
	v_pack_b32_f16 v60, v60, v60
	;; [unrolled: 7-line block ×3, first 2 shown]
	v_pk_fma_f16 v15, v74, s2, v15
	s_mov_b32 s3, 0xba95394e
	v_pack_b32_f16 v76, v50, v50
	v_pk_add_f16 v14, v15, v14
	s_mov_b32 s2, 0x388bb9fd
	v_pk_mul_f16 v15, v59, s3
	v_pk_mul_f16 v78, v45, s14 op_sel_hi:[0,1]
	v_pk_mul_f16 v45, v45, s16 op_sel_hi:[0,1]
	v_pk_fma_f16 v15, v76, s2, v15
	v_pk_mul_f16 v79, v37, s10 op_sel_hi:[0,1]
	v_pk_mul_f16 v37, v37, s17 op_sel_hi:[0,1]
	v_add_f16_e32 v11, v11, v16
	v_pk_add_f16 v14, v15, v14
	v_alignbit_b32 v15, v45, v78, 16
	v_alignbit_b32 v16, v51, v27, 16
	v_add_f16_e32 v11, v11, v17
	v_pk_add_f16 v15, v15, v16 neg_lo:[0,1] neg_hi:[0,1]
	v_alignbit_b32 v16, v37, v79, 16
	v_alignbit_b32 v17, v53, v28, 16
	v_pk_mul_f16 v80, v46, s7 op_sel_hi:[0,1]
	v_pk_mul_f16 v46, v46, s18 op_sel_hi:[0,1]
	v_pk_add_f16 v15, v67, v15
	v_pk_add_f16 v16, v16, v17 neg_lo:[0,1] neg_hi:[0,1]
	v_pk_add_f16 v15, v16, v15
	v_alignbit_b32 v16, v46, v80, 16
	v_alignbit_b32 v17, v54, v29, 16
	v_pk_mul_f16 v81, v47, s15 op_sel_hi:[0,1]
	v_pk_mul_f16 v47, v47, s19 op_sel_hi:[0,1]
	v_pk_add_f16 v16, v16, v17 neg_lo:[0,1] neg_hi:[0,1]
	v_pk_add_f16 v15, v15, v16
	v_alignbit_b32 v16, v47, v81, 16
	v_alignbit_b32 v17, v55, v30, 16
	v_pk_mul_f16 v82, v48, s6 op_sel_hi:[0,1]
	v_pk_mul_f16 v48, v48, s20 op_sel_hi:[0,1]
	v_add_f16_e32 v11, v11, v18
	v_pk_add_f16 v16, v16, v17 neg_lo:[0,1] neg_hi:[0,1]
	v_add_f16_e32 v11, v11, v19
	v_pk_add_f16 v15, v16, v15
	v_alignbit_b32 v16, v48, v82, 16
	v_alignbit_b32 v17, v57, v31, 16
	v_pk_mul_f16 v83, v50, s11 op_sel_hi:[0,1]
	v_pk_mul_f16 v50, v50, s21 op_sel_hi:[0,1]
	v_add_f16_e32 v11, v11, v20
	v_pk_add_f16 v16, v16, v17 neg_lo:[0,1] neg_hi:[0,1]
	v_add_f16_e32 v11, v11, v21
	v_pk_add_f16 v15, v16, v15
	v_alignbit_b32 v16, v50, v83, 16
	v_alignbit_b32 v17, v58, v32, 16
	v_add_f16_e32 v11, v11, v22
	v_pk_add_f16 v16, v16, v17 neg_lo:[0,1] neg_hi:[0,1]
	v_add_f16_e32 v11, v23, v11
	v_pk_add_f16 v15, v16, v15
	v_mul_u32_u24_e32 v16, 24, v6
	s_mov_b32 s2, 0xffff
	v_add_f16_e32 v11, v24, v11
	v_add3_u32 v17, v1, v16, v7
	v_alignbit_b32 v13, v13, v13, 16
	v_bfi_b32 v16, s2, v25, v26
	v_alignbit_b32 v1, v26, v25, 16
	ds_write_b16 v17, v11
	ds_write_b128 v17, v[13:16] offset:2
	ds_write_b64 v17, v[1:2] offset:18
.LBB0_19:
	s_or_b64 exec, exec, s[4:5]
	s_waitcnt lgkmcnt(0)
	s_barrier
	ds_read_u16 v13, v9
	ds_read_u16 v20, v8 offset:286
	ds_read_u16 v19, v8 offset:572
	;; [unrolled: 1-line block ×6, first 2 shown]
                                        ; implicit-def: $vgpr14
	s_and_saveexec_b64 s[2:3], s[0:1]
	s_cbranch_execz .LBB0_21
; %bb.20:
	ds_read_u16 v1, v8 offset:182
	ds_read_u16 v11, v8 offset:468
	;; [unrolled: 1-line block ×7, first 2 shown]
	s_mov_b32 s4, 0x5040100
	s_waitcnt lgkmcnt(4)
	v_perm_b32 v25, v2, v1, s4
	s_waitcnt lgkmcnt(2)
	v_perm_b32 v2, v22, v21, s4
	;; [unrolled: 2-line block ×3, first 2 shown]
.LBB0_21:
	s_or_b64 exec, exec, s[2:3]
	s_movk_i32 s2, 0x4f
	v_mul_lo_u16_sdwa v1, v6, s2 dst_sel:DWORD dst_unused:UNUSED_PAD src0_sel:BYTE_0 src1_sel:DWORD
	v_lshrrev_b16_e32 v47, 10, v1
	v_mul_lo_u16_e32 v1, 13, v47
	v_sub_u16_e32 v48, v6, v1
	v_mov_b32_e32 v27, 6
	v_mul_u32_u24_sdwa v1, v48, v27 dst_sel:DWORD dst_unused:UNUSED_PAD src0_sel:BYTE_0 src1_sel:DWORD
	v_add_u16_e32 v28, 0x5b, v6
	v_lshlrev_b32_e32 v11, 2, v1
	v_mul_lo_u16_sdwa v1, v28, s2 dst_sel:DWORD dst_unused:UNUSED_PAD src0_sel:BYTE_0 src1_sel:DWORD
	v_lshrrev_b16_e32 v1, 10, v1
	v_mul_lo_u16_e32 v29, 13, v1
	global_load_dwordx4 v[21:24], v11, s[8:9]
	global_load_dwordx2 v[31:32], v11, s[8:9] offset:16
	v_sub_u16_e32 v11, v28, v29
	v_mul_u32_u24_sdwa v27, v11, v27 dst_sel:DWORD dst_unused:UNUSED_PAD src0_sel:BYTE_0 src1_sel:DWORD
	v_lshlrev_b32_e32 v33, 2, v27
	global_load_dwordx4 v[27:30], v33, s[8:9]
	global_load_dwordx2 v[45:46], v33, s[8:9] offset:16
	v_lshrrev_b32_e32 v51, 16, v25
	v_lshrrev_b32_e32 v53, 16, v12
	;; [unrolled: 1-line block ×6, first 2 shown]
	s_movk_i32 s4, 0x2b26
	s_mov_b32 s5, 0xbb00
	s_mov_b32 s6, 0xbcab
	s_movk_i32 s7, 0x39e0
	s_mov_b32 s10, 0xb9e0
	s_mov_b32 s11, 0xb574
	s_movk_i32 s15, 0x3574
	s_mov_b32 s14, 0xb70e
	s_movk_i32 s16, 0xb6
	s_waitcnt vmcnt(0) lgkmcnt(0)
	s_barrier
	v_mul_f16_sdwa v33, v20, v21 dst_sel:DWORD dst_unused:UNUSED_PAD src0_sel:DWORD src1_sel:WORD_1
	v_mul_f16_sdwa v34, v44, v21 dst_sel:DWORD dst_unused:UNUSED_PAD src0_sel:DWORD src1_sel:WORD_1
	;; [unrolled: 1-line block ×15, first 2 shown]
	v_fma_f16 v33, v44, v21, v33
	v_fma_f16 v35, v20, v21, -v34
	v_fma_f16 v34, v43, v22, v37
	v_fma_f16 v40, v40, v31, v60
	;; [unrolled: 1-line block ×3, first 2 shown]
	v_mul_f16_sdwa v68, v26, v29 dst_sel:DWORD dst_unused:UNUSED_PAD src0_sel:DWORD src1_sel:WORD_1
	v_mul_f16_sdwa v69, v52, v29 dst_sel:DWORD dst_unused:UNUSED_PAD src0_sel:DWORD src1_sel:WORD_1
	;; [unrolled: 1-line block ×6, first 2 shown]
	v_fma_f16 v37, v19, v22, -v55
	v_fma_f16 v19, v42, v23, v56
	v_fma_f16 v18, v18, v23, -v57
	v_fma_f16 v41, v41, v24, v58
	v_fma_f16 v17, v17, v24, -v59
	v_fma_f16 v16, v16, v31, -v61
	;; [unrolled: 1-line block ×3, first 2 shown]
	v_fma_f16 v21, v12, v28, v66
	v_fma_f16 v24, v51, v28, -v67
	v_fma_f16 v28, v2, v30, -v71
	v_add_f16_e32 v2, v33, v39
	v_add_f16_e32 v12, v34, v40
	v_mul_f16_sdwa v64, v50, v27 dst_sel:DWORD dst_unused:UNUSED_PAD src0_sel:DWORD src1_sel:WORD_1
	v_mul_f16_sdwa v65, v49, v27 dst_sel:DWORD dst_unused:UNUSED_PAD src0_sel:DWORD src1_sel:WORD_1
	;; [unrolled: 1-line block ×3, first 2 shown]
	v_fma_f16 v22, v52, v29, v68
	v_fma_f16 v26, v26, v29, -v69
	v_fma_f16 v29, v10, v45, v72
	v_fma_f16 v31, v38, v46, v74
	v_fma_f16 v32, v14, v46, -v75
	v_sub_f16_e32 v10, v35, v15
	v_sub_f16_e32 v14, v37, v16
	v_add_f16_e32 v38, v19, v41
	v_sub_f16_e32 v42, v17, v18
	v_add_f16_e32 v43, v12, v2
	v_fma_f16 v20, v49, v27, v64
	v_fma_f16 v23, v50, v27, -v65
	v_fma_f16 v27, v53, v30, v70
	v_fma_f16 v30, v54, v45, -v73
	v_sub_f16_e32 v44, v12, v2
	v_sub_f16_e32 v2, v2, v38
	;; [unrolled: 1-line block ×3, first 2 shown]
	v_add_f16_e32 v45, v42, v14
	v_sub_f16_e32 v46, v42, v14
	v_sub_f16_e32 v14, v14, v10
	v_add_f16_e32 v38, v38, v43
	v_sub_f16_e32 v42, v10, v42
	v_add_f16_e32 v10, v45, v10
	v_mul_f16_e32 v2, 0x3a52, v2
	v_mul_f16_e32 v43, 0x2b26, v12
	v_add_f16_e32 v45, v36, v38
	v_mul_f16_e32 v36, 0x3846, v46
	v_mul_f16_e32 v46, 0xbb00, v14
	v_fma_f16 v38, v38, s6, v45
	v_fma_f16 v12, v12, s4, v2
	v_fma_f16 v43, v44, s7, -v43
	v_fma_f16 v2, v44, s10, -v2
	v_fma_f16 v44, v42, s11, v36
	v_fma_f16 v14, v14, s5, -v36
	v_fma_f16 v36, v42, s15, -v46
	v_add_f16_e32 v12, v12, v38
	v_add_f16_e32 v42, v43, v38
	;; [unrolled: 1-line block ×3, first 2 shown]
	v_fma_f16 v38, v10, s14, v44
	v_fma_f16 v14, v10, s14, v14
	;; [unrolled: 1-line block ×3, first 2 shown]
	v_add_f16_e32 v44, v10, v2
	v_sub_f16_e32 v10, v2, v10
	v_mov_b32_e32 v2, 1
	v_add_f16_e32 v43, v38, v12
	v_sub_f16_e32 v12, v12, v38
	v_mad_u32_u24 v36, v47, s16, 0
	v_lshlrev_b32_sdwa v38, v2, v48 dst_sel:DWORD dst_unused:UNUSED_PAD src0_sel:DWORD src1_sel:BYTE_0
	v_add3_u32 v36, v36, v38, v7
	v_sub_f16_e32 v46, v42, v14
	v_add_f16_e32 v14, v14, v42
	ds_write_b16 v36, v45
	ds_write_b16 v36, v43 offset:26
	ds_write_b16 v36, v44 offset:52
	;; [unrolled: 1-line block ×6, first 2 shown]
	s_and_saveexec_b64 s[2:3], s[0:1]
	s_cbranch_execz .LBB0_23
; %bb.22:
	v_add_f16_e32 v10, v20, v31
	v_add_f16_e32 v38, v21, v29
	;; [unrolled: 1-line block ×4, first 2 shown]
	v_sub_f16_e32 v45, v28, v26
	v_sub_f16_e32 v47, v24, v30
	;; [unrolled: 1-line block ×4, first 2 shown]
	v_add_f16_e32 v12, v12, v44
	v_sub_f16_e32 v44, v23, v32
	v_sub_f16_e32 v48, v45, v47
	v_mul_f16_e32 v14, 0x3a52, v14
	v_mul_f16_e32 v43, 0x2b26, v42
	v_add_f16_e32 v0, v0, v12
	v_sub_f16_e32 v46, v44, v45
	v_mul_f16_e32 v48, 0x3846, v48
	v_add_f16_e32 v45, v45, v47
	v_sub_f16_e32 v10, v38, v10
	v_sub_f16_e32 v38, v47, v44
	v_fma_f16 v42, v42, s4, v14
	v_fma_f16 v12, v12, s6, v0
	;; [unrolled: 1-line block ×3, first 2 shown]
	v_add_f16_e32 v45, v45, v44
	v_fma_f16 v14, v10, s10, -v14
	v_mul_f16_e32 v44, 0xbb00, v38
	v_fma_f16 v38, v38, s5, -v48
	v_fma_f16 v10, v10, s7, -v43
	v_add_f16_e32 v42, v42, v12
	v_fma_f16 v49, v45, s14, v49
	v_fma_f16 v38, v45, s14, v38
	v_add_f16_e32 v10, v10, v12
	v_sub_f16_e32 v50, v42, v49
	v_add_f16_e32 v14, v14, v12
	v_fma_f16 v44, v46, s15, -v44
	v_add_f16_e32 v12, v38, v10
	v_sub_f16_e32 v10, v10, v38
	v_add_f16_e32 v38, v49, v42
	v_mad_u32_u24 v42, v1, s16, 0
	v_lshlrev_b32_sdwa v2, v2, v11 dst_sel:DWORD dst_unused:UNUSED_PAD src0_sel:DWORD src1_sel:BYTE_0
	v_fma_f16 v44, v45, s14, v44
	v_add3_u32 v2, v42, v2, v7
	v_sub_f16_e32 v46, v14, v44
	v_add_f16_e32 v14, v44, v14
	ds_write_b16 v2, v0
	ds_write_b16 v2, v38 offset:26
	ds_write_b16 v2, v14 offset:52
	ds_write_b16 v2, v10 offset:78
	ds_write_b16 v2, v12 offset:104
	ds_write_b16 v2, v46 offset:130
	ds_write_b16 v2, v50 offset:156
.LBB0_23:
	s_or_b64 exec, exec, s[2:3]
	v_add_f16_e32 v0, v35, v15
	v_add_f16_e32 v10, v37, v16
	v_sub_f16_e32 v2, v33, v39
	v_sub_f16_e32 v12, v34, v40
	v_add_f16_e32 v14, v18, v17
	v_sub_f16_e32 v15, v41, v19
	v_add_f16_e32 v16, v10, v0
	v_sub_f16_e32 v17, v10, v0
	v_sub_f16_e32 v0, v0, v14
	;; [unrolled: 1-line block ×3, first 2 shown]
	v_add_f16_e32 v18, v15, v12
	v_sub_f16_e32 v19, v15, v12
	v_sub_f16_e32 v12, v12, v2
	v_add_f16_e32 v14, v14, v16
	v_sub_f16_e32 v15, v2, v15
	v_add_f16_e32 v2, v18, v2
	v_add_f16_e32 v33, v13, v14
	v_mul_f16_e32 v0, 0x3a52, v0
	v_mul_f16_e32 v13, 0x2b26, v10
	;; [unrolled: 1-line block ×4, first 2 shown]
	v_fma_f16 v14, v14, s6, v33
	v_fma_f16 v10, v10, s4, v0
	v_fma_f16 v13, v17, s7, -v13
	v_fma_f16 v0, v17, s10, -v0
	v_fma_f16 v17, v15, s11, v16
	v_fma_f16 v12, v12, s5, -v16
	v_fma_f16 v15, v15, s15, -v18
	v_add_f16_e32 v10, v10, v14
	v_add_f16_e32 v13, v13, v14
	;; [unrolled: 1-line block ×3, first 2 shown]
	v_fma_f16 v14, v2, s14, v17
	v_fma_f16 v12, v2, s14, v12
	;; [unrolled: 1-line block ×3, first 2 shown]
	v_sub_f16_e32 v34, v10, v14
	v_sub_f16_e32 v35, v0, v2
	v_add_f16_e32 v37, v12, v13
	v_sub_f16_e32 v38, v13, v12
	v_add_f16_e32 v39, v2, v0
	v_add_f16_e32 v40, v14, v10
	s_waitcnt lgkmcnt(0)
	s_barrier
	ds_read_u16 v0, v9
	ds_read_u16 v16, v8 offset:182
	ds_read_u16 v15, v8 offset:364
	;; [unrolled: 1-line block ×10, first 2 shown]
	s_waitcnt lgkmcnt(0)
	s_barrier
	ds_write_b16 v36, v33
	ds_write_b16 v36, v34 offset:26
	ds_write_b16 v36, v35 offset:52
	ds_write_b16 v36, v37 offset:78
	ds_write_b16 v36, v38 offset:104
	ds_write_b16 v36, v39 offset:130
	ds_write_b16 v36, v40 offset:156
	s_and_saveexec_b64 s[2:3], s[0:1]
	s_cbranch_execz .LBB0_25
; %bb.24:
	v_add_f16_e32 v23, v23, v32
	v_add_f16_e32 v24, v24, v30
	;; [unrolled: 1-line block ×3, first 2 shown]
	v_sub_f16_e32 v22, v27, v22
	v_add_f16_e32 v27, v24, v23
	v_sub_f16_e32 v28, v24, v23
	v_sub_f16_e32 v23, v23, v26
	;; [unrolled: 1-line block ×3, first 2 shown]
	v_mul_f16_e32 v23, 0x3a52, v23
	s_movk_i32 s0, 0x2b26
	v_sub_f16_e32 v21, v21, v29
	v_add_f16_e32 v26, v26, v27
	v_mul_f16_e32 v27, 0x2b26, v24
	v_fma_f16 v24, v24, s0, v23
	s_movk_i32 s0, 0x39e0
	v_sub_f16_e32 v20, v20, v31
	v_add_f16_e32 v29, v22, v21
	v_sub_f16_e32 v30, v22, v21
	v_fma_f16 v27, v28, s0, -v27
	s_mov_b32 s0, 0xb9e0
	v_sub_f16_e32 v22, v20, v22
	v_sub_f16_e32 v21, v21, v20
	v_add_f16_e32 v20, v29, v20
	v_mul_f16_e32 v29, 0x3846, v30
	v_fma_f16 v23, v28, s0, -v23
	s_mov_b32 s0, 0xb574
	v_add_f16_e32 v25, v25, v26
	s_mov_b32 s1, 0xbb00
	v_mul_f16_e32 v30, 0xbb00, v21
	s_mov_b32 s4, 0xbcab
	v_fma_f16 v28, v22, s0, v29
	s_movk_i32 s0, 0x3574
	v_fma_f16 v26, v26, s4, v25
	v_fma_f16 v21, v21, s1, -v29
	v_fma_f16 v22, v22, s0, -v30
	s_mov_b32 s0, 0xb70e
	v_add_f16_e32 v24, v24, v26
	v_add_f16_e32 v27, v27, v26
	v_add_f16_e32 v23, v23, v26
	v_fma_f16 v26, v20, s0, v28
	v_fma_f16 v21, v20, s0, v21
	;; [unrolled: 1-line block ×3, first 2 shown]
	v_sub_f16_e32 v22, v24, v26
	v_sub_f16_e32 v28, v23, v20
	v_add_f16_e32 v20, v20, v23
	v_add_f16_e32 v23, v26, v24
	s_movk_i32 s0, 0xb6
	v_mov_b32_e32 v24, 1
	v_mad_u32_u24 v1, v1, s0, 0
	v_lshlrev_b32_sdwa v11, v24, v11 dst_sel:DWORD dst_unused:UNUSED_PAD src0_sel:DWORD src1_sel:BYTE_0
	v_add3_u32 v1, v1, v11, v7
	v_add_f16_e32 v29, v21, v27
	v_sub_f16_e32 v21, v27, v21
	ds_write_b16 v1, v25
	ds_write_b16 v1, v22 offset:26
	ds_write_b16 v1, v28 offset:52
	;; [unrolled: 1-line block ×6, first 2 shown]
.LBB0_25:
	s_or_b64 exec, exec, s[2:3]
	s_waitcnt lgkmcnt(0)
	s_barrier
	s_and_saveexec_b64 s[0:1], vcc
	s_cbranch_execz .LBB0_27
; %bb.26:
	v_mul_u32_u24_e32 v1, 10, v6
	v_lshlrev_b32_e32 v1, 2, v1
	global_load_dwordx4 v[20:23], v1, s[8:9] offset:312
	global_load_dwordx2 v[6:7], v1, s[8:9] offset:344
	global_load_dwordx4 v[24:27], v1, s[8:9] offset:328
	ds_read_u16 v1, v8 offset:364
	ds_read_u16 v11, v8 offset:546
	ds_read_u16 v28, v8 offset:728
	ds_read_u16 v29, v8 offset:910
	ds_read_u16 v30, v8 offset:1274
	ds_read_u16 v31, v8 offset:1092
	ds_read_u16 v32, v8 offset:182
	ds_read_u16 v9, v9
	ds_read_u16 v33, v8 offset:1820
	ds_read_u16 v34, v8 offset:1638
	;; [unrolled: 1-line block ×3, first 2 shown]
	s_movk_i32 s0, 0x36a6
	s_mov_b32 s2, 0xb93d
	s_mov_b32 s3, 0xbbad
	;; [unrolled: 1-line block ×3, first 2 shown]
	s_movk_i32 s8, 0x3abb
	s_movk_i32 s11, 0x3853
	;; [unrolled: 1-line block ×5, first 2 shown]
	s_mov_b32 s10, 0xb853
	s_mov_b32 s1, 0xbb47
	;; [unrolled: 1-line block ×5, first 2 shown]
	s_waitcnt vmcnt(2)
	v_lshrrev_b32_e32 v35, 16, v20
	v_mul_f16_e32 v39, v16, v20
	s_waitcnt vmcnt(1)
	v_lshrrev_b32_e32 v41, 16, v7
	v_mul_f16_e32 v42, v19, v7
	v_lshrrev_b32_e32 v36, 16, v21
	v_lshrrev_b32_e32 v37, 16, v22
	;; [unrolled: 1-line block ×3, first 2 shown]
	v_mul_f16_e32 v43, v15, v21
	v_mul_f16_e32 v44, v18, v6
	;; [unrolled: 1-line block ×3, first 2 shown]
	s_waitcnt lgkmcnt(4)
	v_fma_f16 v39, v32, v35, v39
	s_waitcnt lgkmcnt(2)
	v_fma_f16 v42, v33, v41, v42
	v_mul_f16_e32 v19, v19, v41
	v_mul_f16_e32 v16, v16, v35
	s_waitcnt vmcnt(0)
	v_lshrrev_b32_e32 v48, 16, v26
	v_lshrrev_b32_e32 v49, 16, v27
	v_mul_f16_e32 v50, v17, v27
	v_fma_f16 v35, v1, v36, v43
	s_waitcnt lgkmcnt(1)
	v_fma_f16 v41, v34, v40, v44
	v_mul_f16_e32 v18, v18, v40
	v_mul_f16_e32 v15, v15, v36
	v_fma_f16 v36, v11, v37, v45
	v_sub_f16_e32 v45, v39, v42
	v_fma_f16 v7, v33, v7, -v19
	v_fma_f16 v16, v32, v20, -v16
	v_lshrrev_b32_e32 v38, 16, v23
	v_mul_f16_e32 v51, v12, v23
	v_mul_f16_e32 v52, v14, v26
	s_waitcnt lgkmcnt(0)
	v_fma_f16 v40, v8, v49, v50
	v_mul_f16_e32 v17, v17, v49
	v_mul_f16_e32 v13, v13, v37
	v_mul_f16_e32 v14, v14, v48
	v_sub_f16_e32 v19, v35, v41
	v_fma_f16 v6, v34, v6, -v18
	v_fma_f16 v1, v1, v21, -v15
	v_mul_f16_e32 v18, 0xbb47, v45
	v_add_f16_e32 v20, v16, v7
	v_lshrrev_b32_e32 v46, 16, v24
	v_lshrrev_b32_e32 v47, 16, v25
	v_mul_f16_e32 v53, v2, v24
	v_mul_f16_e32 v54, v10, v25
	v_fma_f16 v37, v28, v38, v51
	v_fma_f16 v43, v30, v48, v52
	v_mul_f16_e32 v12, v12, v38
	v_sub_f16_e32 v15, v36, v40
	v_fma_f16 v8, v8, v27, -v17
	v_fma_f16 v11, v11, v22, -v13
	;; [unrolled: 1-line block ×3, first 2 shown]
	v_mul_f16_e32 v21, 0xba0c, v19
	v_add_f16_e32 v22, v1, v6
	v_fma_f16 v30, v20, s0, v18
	v_fma_f16 v38, v29, v46, v53
	;; [unrolled: 1-line block ×3, first 2 shown]
	v_sub_f16_e32 v13, v37, v43
	v_fma_f16 v12, v28, v23, -v12
	v_mul_f16_e32 v23, 0x3482, v15
	v_add_f16_e32 v26, v11, v8
	v_fma_f16 v32, v22, s2, v21
	v_add_f16_e32 v30, v9, v30
	v_mul_f16_e32 v10, v10, v47
	v_mul_f16_e32 v2, v2, v46
	v_sub_f16_e32 v17, v38, v44
	v_mul_f16_e32 v27, 0x3beb, v13
	v_add_f16_e32 v28, v12, v14
	v_fma_f16 v33, v26, s3, v23
	v_add_f16_e32 v30, v30, v32
	v_fma_f16 v10, v31, v25, -v10
	v_fma_f16 v2, v29, v24, -v2
	v_fma_f16 v34, v28, s5, v27
	v_add_f16_e32 v30, v30, v33
	v_mul_f16_e32 v32, 0x3853, v17
	v_add_f16_e32 v24, v2, v10
	v_add_f16_e32 v30, v30, v34
	v_fma_f16 v25, v24, s8, v32
	v_add_f16_e32 v25, v30, v25
	v_sub_f16_e32 v30, v16, v7
	v_add_f16_e32 v29, v39, v42
	v_mul_f16_e32 v31, 0xbb47, v30
	v_sub_f16_e32 v46, v1, v6
	v_fma_f16 v33, v29, s0, -v31
	v_add_f16_e32 v34, v35, v41
	v_mul_f16_e32 v47, 0xba0c, v46
	v_add_f16_e32 v33, v0, v33
	v_fma_f16 v48, v34, s2, -v47
	v_sub_f16_e32 v49, v11, v8
	v_add_f16_e32 v33, v33, v48
	v_add_f16_e32 v48, v36, v40
	v_mul_f16_e32 v50, 0x3482, v49
	v_fma_f16 v51, v48, s3, -v50
	v_sub_f16_e32 v52, v12, v14
	v_add_f16_e32 v33, v33, v51
	v_add_f16_e32 v51, v37, v43
	v_mul_f16_e32 v53, 0x3beb, v52
	;; [unrolled: 5-line block ×3, first 2 shown]
	v_fma_f16 v57, v54, s8, -v56
	v_add_f16_e32 v33, v33, v57
	v_mul_f16_e32 v57, 0xbbeb, v45
	v_fma_f16 v58, v20, s5, v57
	v_mul_f16_e32 v59, 0x3482, v19
	v_add_f16_e32 v58, v9, v58
	v_fma_f16 v60, v22, s3, v59
	v_add_f16_e32 v58, v58, v60
	v_mul_f16_e32 v60, 0x3b47, v15
	v_fma_f16 v61, v26, s0, v60
	v_add_f16_e32 v58, v58, v61
	v_mul_f16_e32 v61, 0xb853, v13
	v_fma_f16 v62, v28, s8, v61
	v_add_f16_e32 v58, v58, v62
	v_mul_f16_e32 v62, 0xba0c, v17
	v_fma_f16 v63, v24, s2, v62
	v_add_f16_e32 v58, v58, v63
	v_mul_f16_e32 v63, 0xbbeb, v30
	v_fma_f16 v64, v29, s5, -v63
	v_mul_f16_e32 v65, 0x3482, v46
	v_add_f16_e32 v64, v0, v64
	v_fma_f16 v66, v34, s3, -v65
	v_add_f16_e32 v64, v64, v66
	v_mul_f16_e32 v66, 0x3b47, v49
	v_fma_f16 v67, v48, s0, -v66
	v_add_f16_e32 v64, v64, v67
	v_mul_f16_e32 v67, 0xb853, v52
	;; [unrolled: 3-line block ×4, first 2 shown]
	v_fma_f16 v70, v20, s2, v69
	v_mul_f16_e32 v71, 0x3beb, v19
	v_add_f16_e32 v70, v9, v70
	v_fma_f16 v72, v22, s5, v71
	v_add_f16_e32 v70, v70, v72
	v_mul_f16_e32 v72, 0xb853, v15
	v_fma_f16 v73, v26, s8, v72
	v_add_f16_e32 v70, v70, v73
	v_mul_f16_e32 v73, 0xb482, v13
	;; [unrolled: 3-line block ×4, first 2 shown]
	v_fma_f16 v76, v29, s2, -v75
	v_mul_f16_e32 v77, 0x3beb, v46
	v_add_f16_e32 v76, v0, v76
	v_fma_f16 v78, v34, s5, -v77
	v_add_f16_e32 v76, v76, v78
	v_mul_f16_e32 v78, 0xb853, v49
	v_fma_f16 v18, v20, s0, -v18
	v_fma_f16 v79, v48, s8, -v78
	v_add_f16_e32 v18, v9, v18
	v_fma_f16 v21, v22, s2, -v21
	v_add_f16_e32 v76, v76, v79
	v_mul_f16_e32 v79, 0xb482, v52
	v_add_f16_e32 v18, v18, v21
	v_fma_f16 v21, v26, s3, -v23
	v_fma_f16 v80, v51, s3, -v79
	v_add_f16_e32 v18, v18, v21
	v_fma_f16 v21, v28, s5, -v27
	v_add_f16_e32 v76, v76, v80
	v_mul_f16_e32 v80, 0x3b47, v55
	v_add_f16_e32 v18, v18, v21
	v_fma_f16 v21, v24, s8, -v32
	v_fma_f16 v81, v54, s0, -v80
	v_add_f16_e32 v18, v18, v21
	v_fma_f16 v21, v29, s0, v31
	v_add_f16_e32 v76, v76, v81
	v_mul_f16_e32 v81, 0xb482, v45
	v_add_f16_e32 v21, v0, v21
	v_fma_f16 v23, v34, s2, v47
	v_add_f16_e32 v16, v16, v9
	v_fma_f16 v82, v20, s3, v81
	v_mul_f16_e32 v83, 0x3853, v19
	v_add_f16_e32 v21, v21, v23
	v_fma_f16 v23, v48, s3, v50
	v_add_f16_e32 v1, v16, v1
	v_add_f16_e32 v82, v9, v82
	v_fma_f16 v84, v22, s8, v83
	v_add_f16_e32 v21, v21, v23
	v_fma_f16 v23, v51, s5, v53
	v_add_f16_e32 v1, v1, v11
	v_add_f16_e32 v82, v82, v84
	v_mul_f16_e32 v84, 0xba0c, v15
	v_fma_f16 v81, v20, s3, -v81
	v_fma_f16 v69, v20, s2, -v69
	;; [unrolled: 1-line block ×3, first 2 shown]
	v_add_f16_e32 v21, v21, v23
	v_fma_f16 v23, v54, s8, v56
	v_mul_f16_e32 v20, 0x3abb, v20
	v_add_f16_e32 v1, v1, v12
	v_fma_f16 v85, v26, s2, v84
	v_add_f16_e32 v81, v9, v81
	v_fma_f16 v83, v22, s8, -v83
	v_add_f16_e32 v69, v9, v69
	v_fma_f16 v71, v22, s5, -v71
	;; [unrolled: 2-line block ×3, first 2 shown]
	v_add_f16_e32 v21, v21, v23
	v_fma_f16 v23, v45, s11, v20
	v_mul_f16_e32 v22, 0x36a6, v22
	v_add_f16_e32 v1, v1, v2
	v_add_f16_e32 v82, v82, v85
	v_mul_f16_e32 v85, 0x3b47, v13
	v_add_f16_e32 v81, v81, v83
	v_fma_f16 v83, v26, s2, -v84
	v_add_f16_e32 v69, v69, v71
	v_fma_f16 v71, v26, s8, -v72
	;; [unrolled: 2-line block ×3, first 2 shown]
	v_add_f16_e32 v23, v9, v23
	v_fma_f16 v27, v19, s14, v22
	v_mul_f16_e32 v26, 0xb08e, v26
	v_add_f16_e32 v1, v1, v10
	v_fma_f16 v86, v28, s0, v85
	v_add_f16_e32 v23, v23, v27
	v_fma_f16 v27, v15, s7, v26
	v_add_f16_e32 v1, v14, v1
	v_add_f16_e32 v82, v82, v86
	v_mul_f16_e32 v86, 0xbbeb, v17
	v_add_f16_e32 v81, v81, v83
	v_fma_f16 v83, v28, s0, -v85
	v_add_f16_e32 v69, v69, v71
	v_fma_f16 v71, v28, s3, -v73
	;; [unrolled: 2-line block ×3, first 2 shown]
	v_add_f16_e32 v23, v23, v27
	v_mul_f16_e32 v27, 0xb93d, v28
	s_movk_i32 s7, 0x3a0c
	v_add_f16_e32 v1, v8, v1
	v_fma_f16 v87, v24, s5, v86
	v_add_f16_e32 v81, v81, v83
	v_fma_f16 v83, v24, s5, -v86
	v_add_f16_e32 v69, v69, v71
	v_fma_f16 v71, v24, s0, -v74
	;; [unrolled: 2-line block ×3, first 2 shown]
	v_fma_f16 v28, v13, s7, v27
	v_mul_f16_e32 v24, 0xbbad, v24
	v_add_f16_e32 v1, v6, v1
	v_add_f16_e32 v23, v23, v28
	v_fma_f16 v28, v17, s6, v24
	v_add_f16_e32 v2, v7, v1
	v_fma_f16 v1, v45, s10, v20
	v_add_f16_e32 v23, v23, v28
	v_mul_f16_e32 v28, 0xb853, v30
	v_add_f16_e32 v1, v9, v1
	v_fma_f16 v6, v19, s1, v22
	v_add_f16_e32 v82, v82, v87
	v_mul_f16_e32 v87, 0xb482, v30
	v_fma_f16 v30, v29, s8, v28
	v_mul_f16_e32 v31, 0xbb47, v46
	v_add_f16_e32 v1, v1, v6
	v_fma_f16 v6, v15, s9, v26
	v_add_f16_e32 v30, v0, v30
	v_fma_f16 v32, v34, s0, v31
	;; [unrolled: 2-line block ×3, first 2 shown]
	v_add_f16_e32 v30, v30, v32
	v_mul_f16_e32 v32, 0xbbeb, v49
	v_add_f16_e32 v1, v1, v6
	v_fma_f16 v6, v17, s15, v24
	v_fma_f16 v88, v29, s3, -v87
	v_mul_f16_e32 v89, 0x3853, v46
	v_add_f16_e32 v81, v81, v83
	v_fma_f16 v83, v29, s3, v87
	v_add_f16_e32 v69, v69, v71
	v_fma_f16 v71, v29, s2, v75
	;; [unrolled: 2-line block ×3, first 2 shown]
	v_fma_f16 v46, v48, s5, v32
	v_add_f16_e32 v7, v1, v6
	v_fma_f16 v1, v29, s8, -v28
	v_add_f16_e32 v88, v0, v88
	v_add_f16_e32 v83, v0, v83
	;; [unrolled: 1-line block ×5, first 2 shown]
	v_mul_f16_e32 v46, 0xba0c, v52
	v_add_f16_e32 v39, v0, v39
	v_add_f16_e32 v0, v0, v1
	v_fma_f16 v1, v34, s0, -v31
	v_fma_f16 v47, v51, s2, v46
	v_add_f16_e32 v35, v39, v35
	v_add_f16_e32 v0, v0, v1
	v_fma_f16 v1, v48, s5, -v32
	v_add_f16_e32 v30, v30, v47
	v_mul_f16_e32 v47, 0xb482, v55
	v_add_f16_e32 v35, v35, v36
	v_add_f16_e32 v0, v0, v1
	v_fma_f16 v1, v51, s2, -v46
	v_add_f16_e32 v35, v35, v37
	v_add_f16_e32 v0, v0, v1
	v_fma_f16 v1, v54, s3, -v47
	v_add_f16_e32 v35, v35, v38
	v_add_f16_e32 v8, v0, v1
	v_lshlrev_b64 v[0:1], 2, v[3:4]
	v_add_f16_e32 v35, v35, v44
	v_add_f16_e32 v35, v43, v35
	v_mov_b32_e32 v6, 0
	v_mov_b32_e32 v3, s13
	v_add_co_u32_e32 v4, vcc, s12, v0
	v_fma_f16 v90, v34, s8, -v89
	v_add_f16_e32 v35, v40, v35
	v_addc_co_u32_e32 v3, vcc, v3, v1, vcc
	v_lshlrev_b64 v[0:1], 2, v[5:6]
	v_add_f16_e32 v88, v88, v90
	v_mul_f16_e32 v90, 0xba0c, v49
	v_fma_f16 v60, v34, s3, v65
	v_add_f16_e32 v35, v41, v35
	v_fma_f16 v91, v48, s2, -v90
	v_fma_f16 v72, v34, s5, v77
	v_add_f16_e32 v59, v59, v60
	v_fma_f16 v60, v48, s0, v66
	v_fma_f16 v49, v54, s3, v47
	v_add_f16_e32 v35, v42, v35
	v_add_co_u32_e32 v0, vcc, v4, v0
	v_add_f16_e32 v88, v88, v91
	v_mul_f16_e32 v91, 0x3b47, v52
	v_fma_f16 v84, v34, s8, v89
	v_add_f16_e32 v71, v71, v72
	v_fma_f16 v72, v48, s8, v78
	v_add_f16_e32 v59, v59, v60
	;; [unrolled: 2-line block ×3, first 2 shown]
	v_addc_co_u32_e32 v1, vcc, v3, v1, vcc
	v_pack_b32_f16 v2, v35, v2
	v_fma_f16 v92, v51, s0, -v91
	v_add_f16_e32 v83, v83, v84
	v_fma_f16 v84, v48, s2, v90
	v_add_f16_e32 v71, v71, v72
	v_fma_f16 v72, v51, s3, v79
	;; [unrolled: 2-line block ×3, first 2 shown]
	global_store_dword v[0:1], v2, off
	v_pack_b32_f16 v2, v30, v23
	v_add_f16_e32 v88, v88, v92
	v_mul_f16_e32 v92, 0xbbeb, v55
	v_add_f16_e32 v83, v83, v84
	v_fma_f16 v84, v51, s0, v91
	v_add_f16_e32 v71, v71, v72
	v_fma_f16 v72, v54, s0, v80
	v_add_f16_e32 v59, v59, v60
	global_store_dword v[0:1], v2, off offset:364
	v_pack_b32_f16 v2, v21, v18
	v_add_f16_e32 v83, v83, v84
	v_fma_f16 v84, v54, s5, v92
	v_add_f16_e32 v71, v71, v72
	global_store_dword v[0:1], v2, off offset:728
	v_pack_b32_f16 v2, v59, v57
	v_fma_f16 v93, v54, s5, -v92
	v_add_f16_e32 v83, v83, v84
	global_store_dword v[0:1], v2, off offset:1092
	v_pack_b32_f16 v2, v71, v69
	v_add_f16_e32 v88, v88, v93
	global_store_dword v[0:1], v2, off offset:1456
	v_pack_b32_f16 v2, v83, v81
	global_store_dword v[0:1], v2, off offset:1820
	v_pack_b32_f16 v2, v88, v82
	;; [unrolled: 2-line block ×6, first 2 shown]
	global_store_dword v[0:1], v2, off offset:3640
.LBB0_27:
	s_endpgm
	.section	.rodata,"a",@progbits
	.p2align	6, 0x0
	.amdhsa_kernel fft_rtc_back_len1001_factors_13_7_11_wgs_182_tpt_91_halfLds_half_ip_CI_unitstride_sbrr_dirReg
		.amdhsa_group_segment_fixed_size 0
		.amdhsa_private_segment_fixed_size 0
		.amdhsa_kernarg_size 88
		.amdhsa_user_sgpr_count 6
		.amdhsa_user_sgpr_private_segment_buffer 1
		.amdhsa_user_sgpr_dispatch_ptr 0
		.amdhsa_user_sgpr_queue_ptr 0
		.amdhsa_user_sgpr_kernarg_segment_ptr 1
		.amdhsa_user_sgpr_dispatch_id 0
		.amdhsa_user_sgpr_flat_scratch_init 0
		.amdhsa_user_sgpr_private_segment_size 0
		.amdhsa_uses_dynamic_stack 0
		.amdhsa_system_sgpr_private_segment_wavefront_offset 0
		.amdhsa_system_sgpr_workgroup_id_x 1
		.amdhsa_system_sgpr_workgroup_id_y 0
		.amdhsa_system_sgpr_workgroup_id_z 0
		.amdhsa_system_sgpr_workgroup_info 0
		.amdhsa_system_vgpr_workitem_id 0
		.amdhsa_next_free_vgpr 94
		.amdhsa_next_free_sgpr 22
		.amdhsa_reserve_vcc 1
		.amdhsa_reserve_flat_scratch 0
		.amdhsa_float_round_mode_32 0
		.amdhsa_float_round_mode_16_64 0
		.amdhsa_float_denorm_mode_32 3
		.amdhsa_float_denorm_mode_16_64 3
		.amdhsa_dx10_clamp 1
		.amdhsa_ieee_mode 1
		.amdhsa_fp16_overflow 0
		.amdhsa_exception_fp_ieee_invalid_op 0
		.amdhsa_exception_fp_denorm_src 0
		.amdhsa_exception_fp_ieee_div_zero 0
		.amdhsa_exception_fp_ieee_overflow 0
		.amdhsa_exception_fp_ieee_underflow 0
		.amdhsa_exception_fp_ieee_inexact 0
		.amdhsa_exception_int_div_zero 0
	.end_amdhsa_kernel
	.text
.Lfunc_end0:
	.size	fft_rtc_back_len1001_factors_13_7_11_wgs_182_tpt_91_halfLds_half_ip_CI_unitstride_sbrr_dirReg, .Lfunc_end0-fft_rtc_back_len1001_factors_13_7_11_wgs_182_tpt_91_halfLds_half_ip_CI_unitstride_sbrr_dirReg
                                        ; -- End function
	.section	.AMDGPU.csdata,"",@progbits
; Kernel info:
; codeLenInByte = 9660
; NumSgprs: 26
; NumVgprs: 94
; ScratchSize: 0
; MemoryBound: 0
; FloatMode: 240
; IeeeMode: 1
; LDSByteSize: 0 bytes/workgroup (compile time only)
; SGPRBlocks: 3
; VGPRBlocks: 23
; NumSGPRsForWavesPerEU: 26
; NumVGPRsForWavesPerEU: 94
; Occupancy: 2
; WaveLimiterHint : 1
; COMPUTE_PGM_RSRC2:SCRATCH_EN: 0
; COMPUTE_PGM_RSRC2:USER_SGPR: 6
; COMPUTE_PGM_RSRC2:TRAP_HANDLER: 0
; COMPUTE_PGM_RSRC2:TGID_X_EN: 1
; COMPUTE_PGM_RSRC2:TGID_Y_EN: 0
; COMPUTE_PGM_RSRC2:TGID_Z_EN: 0
; COMPUTE_PGM_RSRC2:TIDIG_COMP_CNT: 0
	.type	__hip_cuid_6a0ef995af89082,@object ; @__hip_cuid_6a0ef995af89082
	.section	.bss,"aw",@nobits
	.globl	__hip_cuid_6a0ef995af89082
__hip_cuid_6a0ef995af89082:
	.byte	0                               ; 0x0
	.size	__hip_cuid_6a0ef995af89082, 1

	.ident	"AMD clang version 19.0.0git (https://github.com/RadeonOpenCompute/llvm-project roc-6.4.0 25133 c7fe45cf4b819c5991fe208aaa96edf142730f1d)"
	.section	".note.GNU-stack","",@progbits
	.addrsig
	.addrsig_sym __hip_cuid_6a0ef995af89082
	.amdgpu_metadata
---
amdhsa.kernels:
  - .args:
      - .actual_access:  read_only
        .address_space:  global
        .offset:         0
        .size:           8
        .value_kind:     global_buffer
      - .offset:         8
        .size:           8
        .value_kind:     by_value
      - .actual_access:  read_only
        .address_space:  global
        .offset:         16
        .size:           8
        .value_kind:     global_buffer
      - .actual_access:  read_only
        .address_space:  global
        .offset:         24
        .size:           8
        .value_kind:     global_buffer
      - .offset:         32
        .size:           8
        .value_kind:     by_value
      - .actual_access:  read_only
        .address_space:  global
        .offset:         40
        .size:           8
        .value_kind:     global_buffer
      - .actual_access:  read_only
        .address_space:  global
        .offset:         48
        .size:           8
        .value_kind:     global_buffer
      - .offset:         56
        .size:           4
        .value_kind:     by_value
      - .actual_access:  read_only
        .address_space:  global
        .offset:         64
        .size:           8
        .value_kind:     global_buffer
      - .actual_access:  read_only
        .address_space:  global
        .offset:         72
        .size:           8
        .value_kind:     global_buffer
      - .address_space:  global
        .offset:         80
        .size:           8
        .value_kind:     global_buffer
    .group_segment_fixed_size: 0
    .kernarg_segment_align: 8
    .kernarg_segment_size: 88
    .language:       OpenCL C
    .language_version:
      - 2
      - 0
    .max_flat_workgroup_size: 182
    .name:           fft_rtc_back_len1001_factors_13_7_11_wgs_182_tpt_91_halfLds_half_ip_CI_unitstride_sbrr_dirReg
    .private_segment_fixed_size: 0
    .sgpr_count:     26
    .sgpr_spill_count: 0
    .symbol:         fft_rtc_back_len1001_factors_13_7_11_wgs_182_tpt_91_halfLds_half_ip_CI_unitstride_sbrr_dirReg.kd
    .uniform_work_group_size: 1
    .uses_dynamic_stack: false
    .vgpr_count:     94
    .vgpr_spill_count: 0
    .wavefront_size: 64
amdhsa.target:   amdgcn-amd-amdhsa--gfx906
amdhsa.version:
  - 1
  - 2
...

	.end_amdgpu_metadata
